;; amdgpu-corpus repo=zjin-lcf/HeCBench kind=compiled arch=gfx906 opt=O3
	.amdgcn_target "amdgcn-amd-amdhsa--gfx906"
	.amdhsa_code_object_version 6
	.section	.text._Z8findTopKIfLi2048ELi256ELi64EEvPiS0_PKT_fimm,"axG",@progbits,_Z8findTopKIfLi2048ELi256ELi64EEvPiS0_PKT_fimm,comdat
	.protected	_Z8findTopKIfLi2048ELi256ELi64EEvPiS0_PKT_fimm ; -- Begin function _Z8findTopKIfLi2048ELi256ELi64EEvPiS0_PKT_fimm
	.globl	_Z8findTopKIfLi2048ELi256ELi64EEvPiS0_PKT_fimm
	.p2align	8
	.type	_Z8findTopKIfLi2048ELi256ELi64EEvPiS0_PKT_fimm,@function
_Z8findTopKIfLi2048ELi256ELi64EEvPiS0_PKT_fimm: ; @_Z8findTopKIfLi2048ELi256ELi64EEvPiS0_PKT_fimm
; %bb.0:
	s_load_dwordx8 s[16:23], s[4:5], 0x10
	s_load_dwordx4 s[24:27], s[4:5], 0x0
	v_mov_b32_e32 v1, 0
	v_lshlrev_b32_e32 v8, 2, v0
	v_lshlrev_b32_e32 v7, 2, v0
	s_waitcnt lgkmcnt(0)
	s_mul_i32 s0, s21, s7
	s_mul_hi_u32 s1, s20, s7
	s_add_i32 s21, s1, s0
	s_mul_i32 s20, s20, s7
	s_add_u32 s30, s20, s6
	s_addc_u32 s31, s21, 0
	v_cmp_gt_u64_e64 s[0:1], s[22:23], v[0:1]
	s_mov_b32 s7, 0
	v_sub_f32_e64 v6, 1.0, s18
	s_mul_i32 s33, s22, s31
	s_mul_hi_u32 s34, s22, s30
	s_mul_i32 s35, s23, s30
	s_mul_i32 s14, s22, s30
	ds_write2st64_b32 v8, v1, v1 offset1:4
	ds_write2st64_b32 v8, v1, v1 offset0:8 offset1:12
	ds_write2st64_b32 v8, v1, v1 offset0:16 offset1:20
	;; [unrolled: 1-line block ×3, first 2 shown]
	s_waitcnt lgkmcnt(0)
	s_barrier
	s_and_saveexec_b64 s[4:5], s[0:1]
	s_cbranch_execz .LBB0_6
; %bb.1:
	s_add_i32 s2, s34, s33
	s_add_i32 s15, s2, s35
	s_lshl_b64 s[2:3], s[14:15], 2
	s_add_u32 s2, s16, s2
	s_addc_u32 s3, s17, s3
	v_mov_b32_e32 v3, s3
	v_add_co_u32_e32 v2, vcc, s2, v7
	v_mov_b32_e32 v5, v1
	v_addc_co_u32_e32 v3, vcc, 0, v3, vcc
	s_mov_b64 s[8:9], 0
	v_mov_b32_e32 v9, 1
	v_mov_b32_e32 v4, v0
	s_branch .LBB0_3
.LBB0_2:                                ;   in Loop: Header=BB0_3 Depth=1
	s_or_b64 exec, exec, s[2:3]
	v_add_co_u32_e32 v4, vcc, 0x100, v4
	v_addc_co_u32_e32 v5, vcc, 0, v5, vcc
	v_cmp_le_u64_e64 s[2:3], s[22:23], v[4:5]
	v_add_co_u32_e32 v2, vcc, 0x400, v2
	s_or_b64 s[8:9], s[2:3], s[8:9]
	v_addc_co_u32_e32 v3, vcc, 0, v3, vcc
	s_andn2_b64 exec, exec, s[8:9]
	s_cbranch_execz .LBB0_6
.LBB0_3:                                ; =>This Inner Loop Header: Depth=1
	global_load_dword v10, v[2:3], off
	s_waitcnt vmcnt(0)
	v_cmp_lt_f32_e32 vcc, s18, v10
	s_and_saveexec_b64 s[2:3], vcc
	s_cbranch_execz .LBB0_2
; %bb.4:                                ;   in Loop: Header=BB0_3 Depth=1
	v_subrev_f32_e32 v10, s18, v10
	v_div_scale_f32 v11, s[10:11], v6, v6, v10
	v_div_scale_f32 v12, vcc, v10, v6, v10
	v_rcp_f32_e32 v13, v11
	v_fma_f32 v14, -v11, v13, 1.0
	v_fmac_f32_e32 v13, v14, v13
	v_mul_f32_e32 v14, v12, v13
	v_fma_f32 v15, -v11, v14, v12
	v_fmac_f32_e32 v14, v15, v13
	v_fma_f32 v11, -v11, v14, v12
	v_div_fmas_f32 v11, v11, v13, v14
	v_div_fixup_f32 v10, v11, v6, v10
	v_mul_f32_e32 v10, 0x45000000, v10
	v_cvt_i32_f32_e32 v10, v10
	v_cmp_lt_i32_e32 vcc, 0, v10
	s_and_b64 exec, exec, vcc
	s_cbranch_execz .LBB0_2
; %bb.5:                                ;   in Loop: Header=BB0_3 Depth=1
	v_min_u32_e32 v10, 0x7ff, v10
	v_lshl_add_u32 v10, v10, 2, -4
	ds_add_u32 v10, v9
	s_branch .LBB0_2
.LBB0_6:
	s_or_b64 exec, exec, s[4:5]
	v_cmp_gt_u32_e32 vcc, 64, v0
	s_waitcnt lgkmcnt(0)
	s_barrier
	s_and_saveexec_b64 s[28:29], vcc
	s_cbranch_execz .LBB0_9
; %bb.7:
	v_mbcnt_lo_u32_b32 v2, -1, 0
	v_mbcnt_hi_u32_b32 v11, -1, v2
	v_and_b32_e32 v12, 63, v11
	v_cmp_ne_u32_e32 vcc, 63, v12
	v_cmp_gt_u32_e64 s[2:3], 62, v12
	v_cmp_gt_u32_e64 s[4:5], 60, v12
	v_cmp_gt_u32_e64 s[8:9], 56, v12
	v_cmp_gt_u32_e64 s[10:11], 48, v12
	v_lshlrev_b32_e32 v13, 2, v11
	v_addc_co_u32_e32 v3, vcc, 0, v11, vcc
	v_cndmask_b32_e64 v4, 0, 2, s[2:3]
	v_cndmask_b32_e64 v5, 0, 4, s[4:5]
	;; [unrolled: 1-line block ×4, first 2 shown]
	v_mov_b32_e32 v9, 0
	v_and_b32_e32 v2, 0x100, v13
	v_lshlrev_b32_e32 v3, 2, v3
	v_cmp_eq_u32_e32 vcc, 63, v0
	v_add_lshl_u32 v4, v4, v11, 2
	v_cmp_lt_u32_e64 s[2:3], 61, v0
	v_add_lshl_u32 v5, v5, v11, 2
	v_cmp_lt_u32_e64 s[4:5], 59, v0
	v_add_lshl_u32 v10, v10, v11, 2
	v_cmp_lt_u32_e64 s[8:9], 55, v0
	v_add_lshl_u32 v11, v12, v11, 2
	v_cmp_lt_u32_e64 s[10:11], 47, v0
	v_or_b32_e32 v12, 0x80, v13
	v_cmp_lt_u32_e64 s[12:13], 31, v0
	s_movk_i32 s15, 0x1c00
.LBB0_8:                                ; =>This Inner Loop Header: Depth=1
	v_add_u32_e32 v17, s15, v8
	ds_read2st64_b32 v[13:14], v17 offset0:2 offset1:3
	ds_read2st64_b32 v[15:16], v17 offset1:1
	s_addk_i32 s15, 0xfc00
	s_cmpk_lg_i32 s15, 0xfc00
	s_waitcnt lgkmcnt(1)
	ds_bpermute_b32 v18, v3, v14
	ds_bpermute_b32 v19, v3, v13
	s_waitcnt lgkmcnt(2)
	ds_bpermute_b32 v20, v3, v16
	ds_bpermute_b32 v21, v3, v15
	s_waitcnt lgkmcnt(3)
	v_cndmask_b32_e64 v18, v18, 0, vcc
	v_add_u32_e32 v14, v18, v14
	ds_bpermute_b32 v18, v4, v14
	s_waitcnt lgkmcnt(3)
	v_cndmask_b32_e64 v19, v19, 0, vcc
	v_add_u32_e32 v13, v19, v13
	ds_bpermute_b32 v19, v4, v13
	s_waitcnt lgkmcnt(3)
	v_cndmask_b32_e64 v20, v20, 0, vcc
	s_waitcnt lgkmcnt(1)
	v_cndmask_b32_e64 v18, v18, 0, s[2:3]
	v_add_u32_e32 v14, v18, v14
	ds_bpermute_b32 v18, v5, v14
	v_add_u32_e32 v16, v20, v16
	s_waitcnt lgkmcnt(1)
	v_cndmask_b32_e64 v19, v19, 0, s[2:3]
	ds_bpermute_b32 v20, v4, v16
	v_add_u32_e32 v13, v19, v13
	s_waitcnt lgkmcnt(1)
	v_cndmask_b32_e64 v18, v18, 0, s[4:5]
	ds_bpermute_b32 v19, v5, v13
	v_add_u32_e32 v14, v18, v14
	ds_bpermute_b32 v18, v10, v14
	v_cndmask_b32_e64 v21, v21, 0, vcc
	v_add_u32_e32 v15, v21, v15
	s_waitcnt lgkmcnt(2)
	v_cndmask_b32_e64 v20, v20, 0, s[2:3]
	ds_bpermute_b32 v21, v4, v15
	v_add_u32_e32 v16, v20, v16
	s_waitcnt lgkmcnt(2)
	v_cndmask_b32_e64 v19, v19, 0, s[4:5]
	ds_bpermute_b32 v20, v5, v16
	;; [unrolled: 4-line block ×3, first 2 shown]
	v_add_u32_e32 v14, v18, v14
	ds_bpermute_b32 v18, v11, v14
	s_waitcnt lgkmcnt(3)
	v_cndmask_b32_e64 v21, v21, 0, s[2:3]
	v_add_u32_e32 v15, v21, v15
	s_waitcnt lgkmcnt(2)
	v_cndmask_b32_e64 v20, v20, 0, s[4:5]
	ds_bpermute_b32 v21, v5, v15
	v_add_u32_e32 v16, v20, v16
	s_waitcnt lgkmcnt(2)
	v_cndmask_b32_e64 v19, v19, 0, s[8:9]
	ds_bpermute_b32 v20, v10, v16
	;; [unrolled: 4-line block ×3, first 2 shown]
	v_add_u32_e32 v14, v18, v14
	ds_bpermute_b32 v18, v12, v14
	s_waitcnt lgkmcnt(3)
	v_cndmask_b32_e64 v21, v21, 0, s[4:5]
	v_add_u32_e32 v15, v21, v15
	s_waitcnt lgkmcnt(2)
	v_cndmask_b32_e64 v20, v20, 0, s[8:9]
	ds_bpermute_b32 v21, v10, v15
	v_add_u32_e32 v16, v20, v16
	s_waitcnt lgkmcnt(2)
	v_cndmask_b32_e64 v19, v19, 0, s[10:11]
	ds_bpermute_b32 v20, v11, v16
	;; [unrolled: 4-line block ×3, first 2 shown]
	v_add3_u32 v14, v18, v14, v9
	ds_bpermute_b32 v9, v2, v14
	s_waitcnt lgkmcnt(3)
	v_cndmask_b32_e64 v21, v21, 0, s[8:9]
	v_add_u32_e32 v15, v21, v15
	s_waitcnt lgkmcnt(2)
	v_cndmask_b32_e64 v18, v20, 0, s[10:11]
	ds_bpermute_b32 v21, v11, v15
	v_add_u32_e32 v16, v18, v16
	s_waitcnt lgkmcnt(2)
	v_cndmask_b32_e64 v19, v19, 0, s[12:13]
	ds_bpermute_b32 v18, v12, v16
	s_waitcnt lgkmcnt(2)
	v_add3_u32 v13, v19, v13, v9
	ds_bpermute_b32 v9, v2, v13
	s_waitcnt lgkmcnt(2)
	v_cndmask_b32_e64 v19, v21, 0, s[10:11]
	v_add_u32_e32 v15, v19, v15
	s_waitcnt lgkmcnt(1)
	v_cndmask_b32_e64 v18, v18, 0, s[12:13]
	ds_bpermute_b32 v19, v12, v15
	s_waitcnt lgkmcnt(1)
	v_add3_u32 v16, v18, v16, v9
	ds_bpermute_b32 v9, v2, v16
	s_waitcnt lgkmcnt(1)
	v_cndmask_b32_e64 v18, v19, 0, s[12:13]
	s_waitcnt lgkmcnt(0)
	v_add3_u32 v15, v18, v15, v9
	ds_bpermute_b32 v9, v2, v15
	ds_write2st64_b32 v17, v13, v14 offset0:2 offset1:3
	ds_write2st64_b32 v17, v15, v16 offset1:1
	s_cbranch_scc1 .LBB0_8
.LBB0_9:
	s_or_b64 exec, exec, s[28:29]
	s_lshl_b64 s[2:3], s[20:21], 2
	s_add_u32 s4, s26, s2
	s_addc_u32 s5, s27, s3
	s_lshl_b64 s[2:3], s[6:7], 2
	s_add_u32 s2, s4, s2
	s_addc_u32 s3, s5, s3
	v_cmp_eq_u32_e32 vcc, 0, v0
	s_and_saveexec_b64 s[4:5], vcc
	s_cbranch_execz .LBB0_11
; %bb.10:
	v_mov_b32_e32 v2, 0
	global_store_dword v2, v2, s[2:3]
.LBB0_11:
	s_or_b64 exec, exec, s[4:5]
	s_waitcnt vmcnt(0) lgkmcnt(0)
	s_barrier
	s_and_saveexec_b64 s[4:5], s[0:1]
	s_cbranch_execz .LBB0_18
; %bb.12:
	s_ashr_i32 s0, s19, 31
	s_mul_hi_u32 s1, s30, s19
	s_mul_i32 s0, s30, s0
	s_add_i32 s0, s1, s0
	s_mul_i32 s31, s31, s19
	s_add_i32 s1, s0, s31
	s_mul_i32 s0, s30, s19
	s_lshl_b64 s[0:1], s[0:1], 2
	s_add_u32 s8, s24, s0
	s_addc_u32 s9, s25, s1
	s_add_i32 s0, s34, s33
	s_add_i32 s15, s0, s35
	s_lshl_b64 s[0:1], s[14:15], 2
	s_add_u32 s0, s16, s0
	s_addc_u32 s1, s17, s1
	v_mov_b32_e32 v3, s1
	v_add_co_u32_e32 v2, vcc, s0, v7
	v_mov_b32_e32 v8, 0
	v_addc_co_u32_e32 v3, vcc, 0, v3, vcc
	s_mov_b64 s[4:5], 0
	v_mov_b32_e32 v7, 1
	v_mov_b32_e32 v9, 0x7ff
	s_branch .LBB0_14
.LBB0_13:                               ;   in Loop: Header=BB0_14 Depth=1
	s_or_b64 exec, exec, s[0:1]
	v_add_co_u32_e32 v0, vcc, 0x100, v0
	v_addc_co_u32_e32 v1, vcc, 0, v1, vcc
	v_cmp_le_u64_e64 s[0:1], s[22:23], v[0:1]
	v_add_co_u32_e32 v2, vcc, 0x400, v2
	s_or_b64 s[4:5], s[0:1], s[4:5]
	v_addc_co_u32_e32 v3, vcc, 0, v3, vcc
	s_andn2_b64 exec, exec, s[4:5]
	s_cbranch_execz .LBB0_18
.LBB0_14:                               ; =>This Inner Loop Header: Depth=1
	global_load_dword v4, v[2:3], off
	s_waitcnt vmcnt(0)
	v_cmp_lt_f32_e32 vcc, s18, v4
	s_and_saveexec_b64 s[0:1], vcc
	s_cbranch_execz .LBB0_13
; %bb.15:                               ;   in Loop: Header=BB0_14 Depth=1
	v_subrev_f32_e32 v4, s18, v4
	v_div_scale_f32 v5, s[6:7], v6, v6, v4
	v_div_scale_f32 v10, vcc, v4, v6, v4
	v_rcp_f32_e32 v11, v5
	v_fma_f32 v12, -v5, v11, 1.0
	v_fmac_f32_e32 v11, v12, v11
	v_mul_f32_e32 v12, v10, v11
	v_fma_f32 v13, -v5, v12, v10
	v_fmac_f32_e32 v12, v13, v11
	v_fma_f32 v5, -v5, v12, v10
	v_div_fmas_f32 v5, v5, v11, v12
	v_div_fixup_f32 v4, v5, v6, v4
	v_mul_f32_e32 v4, 0x45000000, v4
	v_cvt_i32_f32_e32 v4, v4
	v_med3_i32 v4, v4, 0, v9
	v_lshlrev_b32_e32 v4, 2, v4
	ds_add_rtn_u32 v4, v4, v7
	s_waitcnt lgkmcnt(0)
	v_cmp_gt_i32_e32 vcc, s19, v4
	s_and_b64 exec, exec, vcc
	s_cbranch_execz .LBB0_13
; %bb.16:                               ;   in Loop: Header=BB0_14 Depth=1
	v_ashrrev_i32_e32 v5, 31, v4
	v_lshlrev_b64 v[4:5], 2, v[4:5]
	v_mov_b32_e32 v10, s9
	v_add_co_u32_e32 v4, vcc, s8, v4
	s_mov_b64 s[6:7], exec
	v_addc_co_u32_e32 v5, vcc, v10, v5, vcc
	global_store_dword v[4:5], v0, off
	v_mbcnt_lo_u32_b32 v4, s6, 0
	v_mbcnt_hi_u32_b32 v4, s7, v4
	v_cmp_eq_u32_e32 vcc, 0, v4
	s_and_b64 s[10:11], exec, vcc
	s_mov_b64 exec, s[10:11]
	s_cbranch_execz .LBB0_13
; %bb.17:                               ;   in Loop: Header=BB0_14 Depth=1
	s_bcnt1_i32_b64 s6, s[6:7]
	v_mov_b32_e32 v4, s6
	global_atomic_add v8, v4, s[2:3]
	s_branch .LBB0_13
.LBB0_18:
	s_endpgm
	.section	.rodata,"a",@progbits
	.p2align	6, 0x0
	.amdhsa_kernel _Z8findTopKIfLi2048ELi256ELi64EEvPiS0_PKT_fimm
		.amdhsa_group_segment_fixed_size 8192
		.amdhsa_private_segment_fixed_size 0
		.amdhsa_kernarg_size 48
		.amdhsa_user_sgpr_count 6
		.amdhsa_user_sgpr_private_segment_buffer 1
		.amdhsa_user_sgpr_dispatch_ptr 0
		.amdhsa_user_sgpr_queue_ptr 0
		.amdhsa_user_sgpr_kernarg_segment_ptr 1
		.amdhsa_user_sgpr_dispatch_id 0
		.amdhsa_user_sgpr_flat_scratch_init 0
		.amdhsa_user_sgpr_private_segment_size 0
		.amdhsa_uses_dynamic_stack 0
		.amdhsa_system_sgpr_private_segment_wavefront_offset 0
		.amdhsa_system_sgpr_workgroup_id_x 1
		.amdhsa_system_sgpr_workgroup_id_y 1
		.amdhsa_system_sgpr_workgroup_id_z 0
		.amdhsa_system_sgpr_workgroup_info 0
		.amdhsa_system_vgpr_workitem_id 0
		.amdhsa_next_free_vgpr 29
		.amdhsa_next_free_sgpr 61
		.amdhsa_reserve_vcc 1
		.amdhsa_reserve_flat_scratch 0
		.amdhsa_float_round_mode_32 0
		.amdhsa_float_round_mode_16_64 0
		.amdhsa_float_denorm_mode_32 3
		.amdhsa_float_denorm_mode_16_64 3
		.amdhsa_dx10_clamp 1
		.amdhsa_ieee_mode 1
		.amdhsa_fp16_overflow 0
		.amdhsa_exception_fp_ieee_invalid_op 0
		.amdhsa_exception_fp_denorm_src 0
		.amdhsa_exception_fp_ieee_div_zero 0
		.amdhsa_exception_fp_ieee_overflow 0
		.amdhsa_exception_fp_ieee_underflow 0
		.amdhsa_exception_fp_ieee_inexact 0
		.amdhsa_exception_int_div_zero 0
	.end_amdhsa_kernel
	.section	.text._Z8findTopKIfLi2048ELi256ELi64EEvPiS0_PKT_fimm,"axG",@progbits,_Z8findTopKIfLi2048ELi256ELi64EEvPiS0_PKT_fimm,comdat
.Lfunc_end0:
	.size	_Z8findTopKIfLi2048ELi256ELi64EEvPiS0_PKT_fimm, .Lfunc_end0-_Z8findTopKIfLi2048ELi256ELi64EEvPiS0_PKT_fimm
                                        ; -- End function
	.set _Z8findTopKIfLi2048ELi256ELi64EEvPiS0_PKT_fimm.num_vgpr, 22
	.set _Z8findTopKIfLi2048ELi256ELi64EEvPiS0_PKT_fimm.num_agpr, 0
	.set _Z8findTopKIfLi2048ELi256ELi64EEvPiS0_PKT_fimm.numbered_sgpr, 36
	.set _Z8findTopKIfLi2048ELi256ELi64EEvPiS0_PKT_fimm.num_named_barrier, 0
	.set _Z8findTopKIfLi2048ELi256ELi64EEvPiS0_PKT_fimm.private_seg_size, 0
	.set _Z8findTopKIfLi2048ELi256ELi64EEvPiS0_PKT_fimm.uses_vcc, 1
	.set _Z8findTopKIfLi2048ELi256ELi64EEvPiS0_PKT_fimm.uses_flat_scratch, 0
	.set _Z8findTopKIfLi2048ELi256ELi64EEvPiS0_PKT_fimm.has_dyn_sized_stack, 0
	.set _Z8findTopKIfLi2048ELi256ELi64EEvPiS0_PKT_fimm.has_recursion, 0
	.set _Z8findTopKIfLi2048ELi256ELi64EEvPiS0_PKT_fimm.has_indirect_call, 0
	.section	.AMDGPU.csdata,"",@progbits
; Kernel info:
; codeLenInByte = 1760
; TotalNumSgprs: 40
; NumVgprs: 22
; ScratchSize: 0
; MemoryBound: 0
; FloatMode: 240
; IeeeMode: 1
; LDSByteSize: 8192 bytes/workgroup (compile time only)
; SGPRBlocks: 8
; VGPRBlocks: 7
; NumSGPRsForWavesPerEU: 65
; NumVGPRsForWavesPerEU: 29
; Occupancy: 8
; WaveLimiterHint : 0
; COMPUTE_PGM_RSRC2:SCRATCH_EN: 0
; COMPUTE_PGM_RSRC2:USER_SGPR: 6
; COMPUTE_PGM_RSRC2:TRAP_HANDLER: 0
; COMPUTE_PGM_RSRC2:TGID_X_EN: 1
; COMPUTE_PGM_RSRC2:TGID_Y_EN: 1
; COMPUTE_PGM_RSRC2:TGID_Z_EN: 0
; COMPUTE_PGM_RSRC2:TIDIG_COMP_CNT: 0
	.section	.text._Z8findTopKIfLi2048ELi256ELi32EEvPiS0_PKT_fimm,"axG",@progbits,_Z8findTopKIfLi2048ELi256ELi32EEvPiS0_PKT_fimm,comdat
	.protected	_Z8findTopKIfLi2048ELi256ELi32EEvPiS0_PKT_fimm ; -- Begin function _Z8findTopKIfLi2048ELi256ELi32EEvPiS0_PKT_fimm
	.globl	_Z8findTopKIfLi2048ELi256ELi32EEvPiS0_PKT_fimm
	.p2align	8
	.type	_Z8findTopKIfLi2048ELi256ELi32EEvPiS0_PKT_fimm,@function
_Z8findTopKIfLi2048ELi256ELi32EEvPiS0_PKT_fimm: ; @_Z8findTopKIfLi2048ELi256ELi32EEvPiS0_PKT_fimm
; %bb.0:
	s_load_dwordx8 s[12:19], s[4:5], 0x10
	s_load_dwordx4 s[20:23], s[4:5], 0x0
	v_mov_b32_e32 v1, 0
	v_lshlrev_b32_e32 v8, 2, v0
	v_lshlrev_b32_e32 v7, 2, v0
	s_waitcnt lgkmcnt(0)
	s_mul_i32 s0, s17, s7
	s_mul_hi_u32 s1, s16, s7
	s_add_i32 s25, s1, s0
	s_mul_i32 s24, s16, s7
	s_add_u32 s28, s24, s6
	s_addc_u32 s29, s25, 0
	v_cmp_gt_u64_e64 s[0:1], s[18:19], v[0:1]
	s_mov_b32 s7, 0
	v_sub_f32_e64 v6, 1.0, s14
	s_mul_i32 s30, s18, s29
	s_mul_hi_u32 s31, s18, s28
	s_mul_i32 s33, s19, s28
	s_mul_i32 s16, s18, s28
	ds_write2st64_b32 v8, v1, v1 offset1:4
	ds_write2st64_b32 v8, v1, v1 offset0:8 offset1:12
	ds_write2st64_b32 v8, v1, v1 offset0:16 offset1:20
	;; [unrolled: 1-line block ×3, first 2 shown]
	s_waitcnt lgkmcnt(0)
	s_barrier
	s_and_saveexec_b64 s[4:5], s[0:1]
	s_cbranch_execz .LBB1_6
; %bb.1:
	s_add_i32 s2, s31, s30
	s_add_i32 s17, s2, s33
	s_lshl_b64 s[2:3], s[16:17], 2
	s_add_u32 s2, s12, s2
	s_addc_u32 s3, s13, s3
	v_mov_b32_e32 v3, s3
	v_add_co_u32_e32 v2, vcc, s2, v7
	v_mov_b32_e32 v5, v1
	v_addc_co_u32_e32 v3, vcc, 0, v3, vcc
	s_mov_b64 s[8:9], 0
	v_mov_b32_e32 v9, 1
	v_mov_b32_e32 v4, v0
	s_branch .LBB1_3
.LBB1_2:                                ;   in Loop: Header=BB1_3 Depth=1
	s_or_b64 exec, exec, s[2:3]
	v_add_co_u32_e32 v4, vcc, 0x100, v4
	v_addc_co_u32_e32 v5, vcc, 0, v5, vcc
	v_cmp_le_u64_e64 s[2:3], s[18:19], v[4:5]
	v_add_co_u32_e32 v2, vcc, 0x400, v2
	s_or_b64 s[8:9], s[2:3], s[8:9]
	v_addc_co_u32_e32 v3, vcc, 0, v3, vcc
	s_andn2_b64 exec, exec, s[8:9]
	s_cbranch_execz .LBB1_6
.LBB1_3:                                ; =>This Inner Loop Header: Depth=1
	global_load_dword v10, v[2:3], off
	s_waitcnt vmcnt(0)
	v_cmp_lt_f32_e32 vcc, s14, v10
	s_and_saveexec_b64 s[2:3], vcc
	s_cbranch_execz .LBB1_2
; %bb.4:                                ;   in Loop: Header=BB1_3 Depth=1
	v_subrev_f32_e32 v10, s14, v10
	v_div_scale_f32 v11, s[10:11], v6, v6, v10
	v_div_scale_f32 v12, vcc, v10, v6, v10
	v_rcp_f32_e32 v13, v11
	v_fma_f32 v14, -v11, v13, 1.0
	v_fmac_f32_e32 v13, v14, v13
	v_mul_f32_e32 v14, v12, v13
	v_fma_f32 v15, -v11, v14, v12
	v_fmac_f32_e32 v14, v15, v13
	v_fma_f32 v11, -v11, v14, v12
	v_div_fmas_f32 v11, v11, v13, v14
	v_div_fixup_f32 v10, v11, v6, v10
	v_mul_f32_e32 v10, 0x45000000, v10
	v_cvt_i32_f32_e32 v10, v10
	v_cmp_lt_i32_e32 vcc, 0, v10
	s_and_b64 exec, exec, vcc
	s_cbranch_execz .LBB1_2
; %bb.5:                                ;   in Loop: Header=BB1_3 Depth=1
	v_min_u32_e32 v10, 0x7ff, v10
	v_lshl_add_u32 v10, v10, 2, -4
	ds_add_u32 v10, v9
	s_branch .LBB1_2
.LBB1_6:
	s_or_b64 exec, exec, s[4:5]
	v_cmp_gt_u32_e32 vcc, 32, v0
	s_waitcnt lgkmcnt(0)
	s_barrier
	s_and_saveexec_b64 s[26:27], vcc
	s_cbranch_execz .LBB1_9
; %bb.7:
	v_mbcnt_lo_u32_b32 v2, -1, 0
	v_mbcnt_hi_u32_b32 v11, -1, v2
	v_and_b32_e32 v12, 63, v11
	v_cmp_ne_u32_e32 vcc, 63, v12
	v_cmp_gt_u32_e64 s[2:3], 62, v12
	v_cmp_gt_u32_e64 s[4:5], 60, v12
	;; [unrolled: 1-line block ×4, first 2 shown]
	v_lshlrev_b32_e32 v2, 2, v11
	v_addc_co_u32_e32 v3, vcc, 0, v11, vcc
	v_cndmask_b32_e64 v4, 0, 2, s[2:3]
	v_cndmask_b32_e64 v5, 0, 4, s[4:5]
	;; [unrolled: 1-line block ×4, first 2 shown]
	v_mov_b32_e32 v9, 0
	v_and_b32_e32 v2, 0x100, v2
	v_lshlrev_b32_e32 v3, 2, v3
	v_cmp_eq_u32_e32 vcc, 31, v0
	v_add_lshl_u32 v4, v4, v11, 2
	v_cmp_lt_u32_e64 s[2:3], 29, v0
	v_add_lshl_u32 v5, v5, v11, 2
	v_cmp_lt_u32_e64 s[4:5], 27, v0
	;; [unrolled: 2-line block ×4, first 2 shown]
	s_movk_i32 s17, 0x1e00
.LBB1_8:                                ; =>This Inner Loop Header: Depth=1
	v_add_u32_e32 v16, s17, v8
	ds_read2_b32 v[12:13], v16 offset0:64 offset1:96
	ds_read2_b32 v[14:15], v16 offset1:32
	s_addk_i32 s17, 0xfe00
	s_cmpk_lg_i32 s17, 0xfe00
	s_waitcnt lgkmcnt(1)
	ds_bpermute_b32 v17, v3, v13
	ds_bpermute_b32 v18, v3, v12
	s_waitcnt lgkmcnt(2)
	ds_bpermute_b32 v19, v3, v15
	ds_bpermute_b32 v20, v3, v14
	s_waitcnt lgkmcnt(3)
	v_cndmask_b32_e64 v17, v17, 0, vcc
	v_add_u32_e32 v13, v17, v13
	ds_bpermute_b32 v17, v4, v13
	s_waitcnt lgkmcnt(3)
	v_cndmask_b32_e64 v18, v18, 0, vcc
	v_add_u32_e32 v12, v18, v12
	ds_bpermute_b32 v18, v4, v12
	s_waitcnt lgkmcnt(3)
	v_cndmask_b32_e64 v19, v19, 0, vcc
	s_waitcnt lgkmcnt(1)
	v_cndmask_b32_e64 v17, v17, 0, s[2:3]
	v_add_u32_e32 v13, v17, v13
	ds_bpermute_b32 v17, v5, v13
	v_add_u32_e32 v15, v19, v15
	s_waitcnt lgkmcnt(1)
	v_cndmask_b32_e64 v18, v18, 0, s[2:3]
	ds_bpermute_b32 v19, v4, v15
	v_add_u32_e32 v12, v18, v12
	s_waitcnt lgkmcnt(1)
	v_cndmask_b32_e64 v17, v17, 0, s[4:5]
	ds_bpermute_b32 v18, v5, v12
	v_add_u32_e32 v13, v17, v13
	ds_bpermute_b32 v17, v10, v13
	v_cndmask_b32_e64 v20, v20, 0, vcc
	v_add_u32_e32 v14, v20, v14
	s_waitcnt lgkmcnt(2)
	v_cndmask_b32_e64 v19, v19, 0, s[2:3]
	ds_bpermute_b32 v20, v4, v14
	v_add_u32_e32 v15, v19, v15
	s_waitcnt lgkmcnt(2)
	v_cndmask_b32_e64 v18, v18, 0, s[4:5]
	ds_bpermute_b32 v19, v5, v15
	;; [unrolled: 4-line block ×3, first 2 shown]
	v_add_u32_e32 v13, v17, v13
	ds_bpermute_b32 v17, v11, v13
	s_waitcnt lgkmcnt(3)
	v_cndmask_b32_e64 v20, v20, 0, s[2:3]
	v_add_u32_e32 v14, v20, v14
	s_waitcnt lgkmcnt(2)
	v_cndmask_b32_e64 v19, v19, 0, s[4:5]
	ds_bpermute_b32 v20, v5, v14
	v_add_u32_e32 v15, v19, v15
	s_waitcnt lgkmcnt(2)
	v_cndmask_b32_e64 v18, v18, 0, s[8:9]
	ds_bpermute_b32 v19, v10, v15
	;; [unrolled: 4-line block ×3, first 2 shown]
	v_add3_u32 v13, v17, v13, v9
	ds_bpermute_b32 v9, v2, v13
	s_waitcnt lgkmcnt(3)
	v_cndmask_b32_e64 v20, v20, 0, s[4:5]
	v_add_u32_e32 v14, v20, v14
	s_waitcnt lgkmcnt(2)
	v_cndmask_b32_e64 v17, v19, 0, s[8:9]
	ds_bpermute_b32 v20, v10, v14
	v_add_u32_e32 v15, v17, v15
	s_waitcnt lgkmcnt(2)
	v_cndmask_b32_e64 v18, v18, 0, s[10:11]
	ds_bpermute_b32 v17, v11, v15
	s_waitcnt lgkmcnt(2)
	v_add3_u32 v12, v18, v12, v9
	ds_bpermute_b32 v9, v2, v12
	s_waitcnt lgkmcnt(2)
	v_cndmask_b32_e64 v18, v20, 0, s[8:9]
	v_add_u32_e32 v14, v18, v14
	s_waitcnt lgkmcnt(1)
	v_cndmask_b32_e64 v17, v17, 0, s[10:11]
	ds_bpermute_b32 v18, v11, v14
	s_waitcnt lgkmcnt(1)
	v_add3_u32 v15, v17, v15, v9
	ds_bpermute_b32 v9, v2, v15
	s_waitcnt lgkmcnt(1)
	v_cndmask_b32_e64 v17, v18, 0, s[10:11]
	s_waitcnt lgkmcnt(0)
	v_add3_u32 v14, v17, v14, v9
	ds_bpermute_b32 v9, v2, v14
	ds_write2_b32 v16, v12, v13 offset0:64 offset1:96
	ds_write2_b32 v16, v14, v15 offset1:32
	s_cbranch_scc1 .LBB1_8
.LBB1_9:
	s_or_b64 exec, exec, s[26:27]
	s_lshl_b64 s[2:3], s[24:25], 2
	s_add_u32 s4, s22, s2
	s_addc_u32 s5, s23, s3
	s_lshl_b64 s[2:3], s[6:7], 2
	s_add_u32 s2, s4, s2
	s_addc_u32 s3, s5, s3
	v_cmp_eq_u32_e32 vcc, 0, v0
	s_and_saveexec_b64 s[4:5], vcc
	s_cbranch_execz .LBB1_11
; %bb.10:
	v_mov_b32_e32 v2, 0
	global_store_dword v2, v2, s[2:3]
.LBB1_11:
	s_or_b64 exec, exec, s[4:5]
	s_waitcnt vmcnt(0) lgkmcnt(0)
	s_barrier
	s_and_saveexec_b64 s[4:5], s[0:1]
	s_cbranch_execz .LBB1_18
; %bb.12:
	s_ashr_i32 s0, s15, 31
	s_mul_hi_u32 s1, s28, s15
	s_mul_i32 s0, s28, s0
	s_add_i32 s0, s1, s0
	s_mul_i32 s29, s29, s15
	s_add_i32 s1, s0, s29
	s_mul_i32 s0, s28, s15
	s_lshl_b64 s[0:1], s[0:1], 2
	s_add_u32 s8, s20, s0
	s_addc_u32 s9, s21, s1
	s_add_i32 s0, s31, s30
	s_add_i32 s17, s0, s33
	s_lshl_b64 s[0:1], s[16:17], 2
	s_add_u32 s0, s12, s0
	s_addc_u32 s1, s13, s1
	v_mov_b32_e32 v3, s1
	v_add_co_u32_e32 v2, vcc, s0, v7
	v_mov_b32_e32 v8, 0
	v_addc_co_u32_e32 v3, vcc, 0, v3, vcc
	s_mov_b64 s[4:5], 0
	v_mov_b32_e32 v7, 1
	v_mov_b32_e32 v9, 0x7ff
	s_branch .LBB1_14
.LBB1_13:                               ;   in Loop: Header=BB1_14 Depth=1
	s_or_b64 exec, exec, s[0:1]
	v_add_co_u32_e32 v0, vcc, 0x100, v0
	v_addc_co_u32_e32 v1, vcc, 0, v1, vcc
	v_cmp_le_u64_e64 s[0:1], s[18:19], v[0:1]
	v_add_co_u32_e32 v2, vcc, 0x400, v2
	s_or_b64 s[4:5], s[0:1], s[4:5]
	v_addc_co_u32_e32 v3, vcc, 0, v3, vcc
	s_andn2_b64 exec, exec, s[4:5]
	s_cbranch_execz .LBB1_18
.LBB1_14:                               ; =>This Inner Loop Header: Depth=1
	global_load_dword v4, v[2:3], off
	s_waitcnt vmcnt(0)
	v_cmp_lt_f32_e32 vcc, s14, v4
	s_and_saveexec_b64 s[0:1], vcc
	s_cbranch_execz .LBB1_13
; %bb.15:                               ;   in Loop: Header=BB1_14 Depth=1
	v_subrev_f32_e32 v4, s14, v4
	v_div_scale_f32 v5, s[6:7], v6, v6, v4
	v_div_scale_f32 v10, vcc, v4, v6, v4
	v_rcp_f32_e32 v11, v5
	v_fma_f32 v12, -v5, v11, 1.0
	v_fmac_f32_e32 v11, v12, v11
	v_mul_f32_e32 v12, v10, v11
	v_fma_f32 v13, -v5, v12, v10
	v_fmac_f32_e32 v12, v13, v11
	v_fma_f32 v5, -v5, v12, v10
	v_div_fmas_f32 v5, v5, v11, v12
	v_div_fixup_f32 v4, v5, v6, v4
	v_mul_f32_e32 v4, 0x45000000, v4
	v_cvt_i32_f32_e32 v4, v4
	v_med3_i32 v4, v4, 0, v9
	v_lshlrev_b32_e32 v4, 2, v4
	ds_add_rtn_u32 v4, v4, v7
	s_waitcnt lgkmcnt(0)
	v_cmp_gt_i32_e32 vcc, s15, v4
	s_and_b64 exec, exec, vcc
	s_cbranch_execz .LBB1_13
; %bb.16:                               ;   in Loop: Header=BB1_14 Depth=1
	v_ashrrev_i32_e32 v5, 31, v4
	v_lshlrev_b64 v[4:5], 2, v[4:5]
	v_mov_b32_e32 v10, s9
	v_add_co_u32_e32 v4, vcc, s8, v4
	s_mov_b64 s[6:7], exec
	v_addc_co_u32_e32 v5, vcc, v10, v5, vcc
	global_store_dword v[4:5], v0, off
	v_mbcnt_lo_u32_b32 v4, s6, 0
	v_mbcnt_hi_u32_b32 v4, s7, v4
	v_cmp_eq_u32_e32 vcc, 0, v4
	s_and_b64 s[10:11], exec, vcc
	s_mov_b64 exec, s[10:11]
	s_cbranch_execz .LBB1_13
; %bb.17:                               ;   in Loop: Header=BB1_14 Depth=1
	s_bcnt1_i32_b64 s6, s[6:7]
	v_mov_b32_e32 v4, s6
	global_atomic_add v8, v4, s[2:3]
	s_branch .LBB1_13
.LBB1_18:
	s_endpgm
	.section	.rodata,"a",@progbits
	.p2align	6, 0x0
	.amdhsa_kernel _Z8findTopKIfLi2048ELi256ELi32EEvPiS0_PKT_fimm
		.amdhsa_group_segment_fixed_size 8192
		.amdhsa_private_segment_fixed_size 0
		.amdhsa_kernarg_size 48
		.amdhsa_user_sgpr_count 6
		.amdhsa_user_sgpr_private_segment_buffer 1
		.amdhsa_user_sgpr_dispatch_ptr 0
		.amdhsa_user_sgpr_queue_ptr 0
		.amdhsa_user_sgpr_kernarg_segment_ptr 1
		.amdhsa_user_sgpr_dispatch_id 0
		.amdhsa_user_sgpr_flat_scratch_init 0
		.amdhsa_user_sgpr_private_segment_size 0
		.amdhsa_uses_dynamic_stack 0
		.amdhsa_system_sgpr_private_segment_wavefront_offset 0
		.amdhsa_system_sgpr_workgroup_id_x 1
		.amdhsa_system_sgpr_workgroup_id_y 1
		.amdhsa_system_sgpr_workgroup_id_z 0
		.amdhsa_system_sgpr_workgroup_info 0
		.amdhsa_system_vgpr_workitem_id 0
		.amdhsa_next_free_vgpr 29
		.amdhsa_next_free_sgpr 61
		.amdhsa_reserve_vcc 1
		.amdhsa_reserve_flat_scratch 0
		.amdhsa_float_round_mode_32 0
		.amdhsa_float_round_mode_16_64 0
		.amdhsa_float_denorm_mode_32 3
		.amdhsa_float_denorm_mode_16_64 3
		.amdhsa_dx10_clamp 1
		.amdhsa_ieee_mode 1
		.amdhsa_fp16_overflow 0
		.amdhsa_exception_fp_ieee_invalid_op 0
		.amdhsa_exception_fp_denorm_src 0
		.amdhsa_exception_fp_ieee_div_zero 0
		.amdhsa_exception_fp_ieee_overflow 0
		.amdhsa_exception_fp_ieee_underflow 0
		.amdhsa_exception_fp_ieee_inexact 0
		.amdhsa_exception_int_div_zero 0
	.end_amdhsa_kernel
	.section	.text._Z8findTopKIfLi2048ELi256ELi32EEvPiS0_PKT_fimm,"axG",@progbits,_Z8findTopKIfLi2048ELi256ELi32EEvPiS0_PKT_fimm,comdat
.Lfunc_end1:
	.size	_Z8findTopKIfLi2048ELi256ELi32EEvPiS0_PKT_fimm, .Lfunc_end1-_Z8findTopKIfLi2048ELi256ELi32EEvPiS0_PKT_fimm
                                        ; -- End function
	.set _Z8findTopKIfLi2048ELi256ELi32EEvPiS0_PKT_fimm.num_vgpr, 21
	.set _Z8findTopKIfLi2048ELi256ELi32EEvPiS0_PKT_fimm.num_agpr, 0
	.set _Z8findTopKIfLi2048ELi256ELi32EEvPiS0_PKT_fimm.numbered_sgpr, 34
	.set _Z8findTopKIfLi2048ELi256ELi32EEvPiS0_PKT_fimm.num_named_barrier, 0
	.set _Z8findTopKIfLi2048ELi256ELi32EEvPiS0_PKT_fimm.private_seg_size, 0
	.set _Z8findTopKIfLi2048ELi256ELi32EEvPiS0_PKT_fimm.uses_vcc, 1
	.set _Z8findTopKIfLi2048ELi256ELi32EEvPiS0_PKT_fimm.uses_flat_scratch, 0
	.set _Z8findTopKIfLi2048ELi256ELi32EEvPiS0_PKT_fimm.has_dyn_sized_stack, 0
	.set _Z8findTopKIfLi2048ELi256ELi32EEvPiS0_PKT_fimm.has_recursion, 0
	.set _Z8findTopKIfLi2048ELi256ELi32EEvPiS0_PKT_fimm.has_indirect_call, 0
	.section	.AMDGPU.csdata,"",@progbits
; Kernel info:
; codeLenInByte = 1648
; TotalNumSgprs: 38
; NumVgprs: 21
; ScratchSize: 0
; MemoryBound: 0
; FloatMode: 240
; IeeeMode: 1
; LDSByteSize: 8192 bytes/workgroup (compile time only)
; SGPRBlocks: 8
; VGPRBlocks: 7
; NumSGPRsForWavesPerEU: 65
; NumVGPRsForWavesPerEU: 29
; Occupancy: 8
; WaveLimiterHint : 0
; COMPUTE_PGM_RSRC2:SCRATCH_EN: 0
; COMPUTE_PGM_RSRC2:USER_SGPR: 6
; COMPUTE_PGM_RSRC2:TRAP_HANDLER: 0
; COMPUTE_PGM_RSRC2:TGID_X_EN: 1
; COMPUTE_PGM_RSRC2:TGID_Y_EN: 1
; COMPUTE_PGM_RSRC2:TGID_Z_EN: 0
; COMPUTE_PGM_RSRC2:TIDIG_COMP_CNT: 0
	.section	.AMDGPU.gpr_maximums,"",@progbits
	.set amdgpu.max_num_vgpr, 0
	.set amdgpu.max_num_agpr, 0
	.set amdgpu.max_num_sgpr, 0
	.section	.AMDGPU.csdata,"",@progbits
	.type	__hip_cuid_11260909018cf65c,@object ; @__hip_cuid_11260909018cf65c
	.section	.bss,"aw",@nobits
	.globl	__hip_cuid_11260909018cf65c
__hip_cuid_11260909018cf65c:
	.byte	0                               ; 0x0
	.size	__hip_cuid_11260909018cf65c, 1

	.ident	"AMD clang version 22.0.0git (https://github.com/RadeonOpenCompute/llvm-project roc-7.2.4 26084 f58b06dce1f9c15707c5f808fd002e18c2accf7e)"
	.section	".note.GNU-stack","",@progbits
	.addrsig
	.addrsig_sym __hip_cuid_11260909018cf65c
	.amdgpu_metadata
---
amdhsa.kernels:
  - .args:
      - .actual_access:  write_only
        .address_space:  global
        .offset:         0
        .size:           8
        .value_kind:     global_buffer
      - .address_space:  global
        .offset:         8
        .size:           8
        .value_kind:     global_buffer
      - .actual_access:  read_only
        .address_space:  global
        .offset:         16
        .size:           8
        .value_kind:     global_buffer
      - .offset:         24
        .size:           4
        .value_kind:     by_value
      - .offset:         28
        .size:           4
        .value_kind:     by_value
      - .offset:         32
        .size:           8
        .value_kind:     by_value
      - .offset:         40
        .size:           8
        .value_kind:     by_value
    .group_segment_fixed_size: 8192
    .kernarg_segment_align: 8
    .kernarg_segment_size: 48
    .language:       OpenCL C
    .language_version:
      - 2
      - 0
    .max_flat_workgroup_size: 256
    .name:           _Z8findTopKIfLi2048ELi256ELi64EEvPiS0_PKT_fimm
    .private_segment_fixed_size: 0
    .sgpr_count:     40
    .sgpr_spill_count: 0
    .symbol:         _Z8findTopKIfLi2048ELi256ELi64EEvPiS0_PKT_fimm.kd
    .uniform_work_group_size: 1
    .uses_dynamic_stack: false
    .vgpr_count:     22
    .vgpr_spill_count: 0
    .wavefront_size: 64
  - .args:
      - .actual_access:  write_only
        .address_space:  global
        .offset:         0
        .size:           8
        .value_kind:     global_buffer
      - .address_space:  global
        .offset:         8
        .size:           8
        .value_kind:     global_buffer
      - .actual_access:  read_only
        .address_space:  global
        .offset:         16
        .size:           8
        .value_kind:     global_buffer
      - .offset:         24
        .size:           4
        .value_kind:     by_value
      - .offset:         28
        .size:           4
        .value_kind:     by_value
      - .offset:         32
        .size:           8
        .value_kind:     by_value
      - .offset:         40
        .size:           8
        .value_kind:     by_value
    .group_segment_fixed_size: 8192
    .kernarg_segment_align: 8
    .kernarg_segment_size: 48
    .language:       OpenCL C
    .language_version:
      - 2
      - 0
    .max_flat_workgroup_size: 256
    .name:           _Z8findTopKIfLi2048ELi256ELi32EEvPiS0_PKT_fimm
    .private_segment_fixed_size: 0
    .sgpr_count:     38
    .sgpr_spill_count: 0
    .symbol:         _Z8findTopKIfLi2048ELi256ELi32EEvPiS0_PKT_fimm.kd
    .uniform_work_group_size: 1
    .uses_dynamic_stack: false
    .vgpr_count:     21
    .vgpr_spill_count: 0
    .wavefront_size: 64
amdhsa.target:   amdgcn-amd-amdhsa--gfx906
amdhsa.version:
  - 1
  - 2
...

	.end_amdgpu_metadata
